;; amdgpu-corpus repo=llvm/llvm-project kind=harvested arch=n/a opt=n/a
// NOTE: Assertions have been autogenerated by utils/update_mc_test_checks.py UTC_ARGS: --unique --sort --version 6
// RUN: llvm-mc -triple=amdgcn -mcpu=gfx900 -show-encoding %s | FileCheck %s

s_barrier
// CHECK: s_barrier                               ; encoding: [0x00,0x00,0x8a,0xbf]

s_branch 12609
// CHECK: s_branch 12609                          ; encoding: [0x41,0x31,0x82,0xbf]

s_branch 49617
// CHECK: s_branch 49617                          ; encoding: [0xd1,0xc1,0x82,0xbf]

s_cbranch_cdbgsys 12609
// CHECK: s_cbranch_cdbgsys 12609                 ; encoding: [0x41,0x31,0x97,0xbf]

s_cbranch_cdbgsys 49617
// CHECK: s_cbranch_cdbgsys 49617                 ; encoding: [0xd1,0xc1,0x97,0xbf]

s_cbranch_cdbgsys_and_user 12609
// CHECK: s_cbranch_cdbgsys_and_user 12609        ; encoding: [0x41,0x31,0x9a,0xbf]

s_cbranch_cdbgsys_and_user 49617
// CHECK: s_cbranch_cdbgsys_and_user 49617        ; encoding: [0xd1,0xc1,0x9a,0xbf]

s_cbranch_cdbgsys_or_user 12609
// CHECK: s_cbranch_cdbgsys_or_user 12609         ; encoding: [0x41,0x31,0x99,0xbf]

s_cbranch_cdbgsys_or_user 49617
// CHECK: s_cbranch_cdbgsys_or_user 49617         ; encoding: [0xd1,0xc1,0x99,0xbf]

s_cbranch_cdbguser 12609
// CHECK: s_cbranch_cdbguser 12609                ; encoding: [0x41,0x31,0x98,0xbf]

s_cbranch_cdbguser 49617
// CHECK: s_cbranch_cdbguser 49617                ; encoding: [0xd1,0xc1,0x98,0xbf]

s_cbranch_execnz 12609
// CHECK: s_cbranch_execnz 12609                  ; encoding: [0x41,0x31,0x89,0xbf]

s_cbranch_execnz 49617
// CHECK: s_cbranch_execnz 49617                  ; encoding: [0xd1,0xc1,0x89,0xbf]

s_cbranch_execz 12609
// CHECK: s_cbranch_execz 12609                   ; encoding: [0x41,0x31,0x88,0xbf]

s_cbranch_execz 49617
// CHECK: s_cbranch_execz 49617                   ; encoding: [0xd1,0xc1,0x88,0xbf]

s_cbranch_scc0 12609
// CHECK: s_cbranch_scc0 12609                    ; encoding: [0x41,0x31,0x84,0xbf]

s_cbranch_scc0 49617
// CHECK: s_cbranch_scc0 49617                    ; encoding: [0xd1,0xc1,0x84,0xbf]

s_cbranch_scc1 12609
// CHECK: s_cbranch_scc1 12609                    ; encoding: [0x41,0x31,0x85,0xbf]

s_cbranch_scc1 49617
// CHECK: s_cbranch_scc1 49617                    ; encoding: [0xd1,0xc1,0x85,0xbf]

s_cbranch_vccnz 12609
// CHECK: s_cbranch_vccnz 12609                   ; encoding: [0x41,0x31,0x87,0xbf]

s_cbranch_vccnz 49617
// CHECK: s_cbranch_vccnz 49617                   ; encoding: [0xd1,0xc1,0x87,0xbf]

s_cbranch_vccz 12609
// CHECK: s_cbranch_vccz 12609                    ; encoding: [0x41,0x31,0x86,0xbf]

s_cbranch_vccz 49617
// CHECK: s_cbranch_vccz 49617                    ; encoding: [0xd1,0xc1,0x86,0xbf]

s_decperflevel 0x3141
// CHECK: s_decperflevel 0x3141                   ; encoding: [0x41,0x31,0x95,0xbf]

s_decperflevel 0xc1d1
// CHECK: s_decperflevel 0xc1d1                   ; encoding: [0xd1,0xc1,0x95,0xbf]

s_endpgm
// CHECK: s_endpgm                                ; encoding: [0x00,0x00,0x81,0xbf]

s_endpgm 1
// CHECK: s_endpgm 1                              ; encoding: [0x01,0x00,0x81,0xbf]

s_endpgm 65535
// CHECK: s_endpgm 65535                          ; encoding: [0xff,0xff,0x81,0xbf]

s_endpgm_ordered_ps_done
// CHECK: s_endpgm_ordered_ps_done                ; encoding: [0x00,0x00,0x9e,0xbf]

s_endpgm_saved
// CHECK: s_endpgm_saved                          ; encoding: [0x00,0x00,0x9b,0xbf]

s_icache_inv
// CHECK: s_icache_inv                            ; encoding: [0x00,0x00,0x93,0xbf]

s_incperflevel 0x3141
// CHECK: s_incperflevel 0x3141                   ; encoding: [0x41,0x31,0x94,0xbf]

s_incperflevel 0xc1d1
// CHECK: s_incperflevel 0xc1d1                   ; encoding: [0xd1,0xc1,0x94,0xbf]

s_nop 0x3141
// CHECK: s_nop 0x3141                            ; encoding: [0x41,0x31,0x80,0xbf]

s_nop 0xc1d1
// CHECK: s_nop 0xc1d1                            ; encoding: [0xd1,0xc1,0x80,0xbf]

s_sendmsg 0x3141
// CHECK: s_sendmsg 12609                         ; encoding: [0x41,0x31,0x90,0xbf]

s_sendmsg 0xc1d1
// CHECK: s_sendmsg 49617                         ; encoding: [0xd1,0xc1,0x90,0xbf]

s_sendmsghalt 0x3141
// CHECK: s_sendmsghalt 12609                     ; encoding: [0x41,0x31,0x91,0xbf]

s_sendmsghalt 0xc1d1
// CHECK: s_sendmsghalt 49617                     ; encoding: [0xd1,0xc1,0x91,0xbf]

s_set_gpr_idx_mode 0x0
// CHECK: s_set_gpr_idx_mode gpr_idx()            ; encoding: [0x00,0x00,0x9d,0xbf]

s_set_gpr_idx_mode 0x1
// CHECK: s_set_gpr_idx_mode gpr_idx(SRC0)        ; encoding: [0x01,0x00,0x9d,0xbf]

s_set_gpr_idx_mode 0xF
// CHECK: s_set_gpr_idx_mode gpr_idx(SRC0,SRC1,SRC2,DST) ; encoding: [0x0f,0x00,0x9d,0xbf]

s_set_gpr_idx_off
// CHECK: s_set_gpr_idx_off                       ; encoding: [0x00,0x00,0x9c,0xbf]

s_sethalt 0x3141
// CHECK: s_sethalt 0x3141                        ; encoding: [0x41,0x31,0x8d,0xbf]

s_sethalt 0xc1d1
// CHECK: s_sethalt 0xc1d1                        ; encoding: [0xd1,0xc1,0x8d,0xbf]

s_setkill 0x3141
// CHECK: s_setkill 0x3141                        ; encoding: [0x41,0x31,0x8b,0xbf]

s_setkill 0xc1d1
// CHECK: s_setkill 0xc1d1                        ; encoding: [0xd1,0xc1,0x8b,0xbf]

s_setprio 0x3141
// CHECK: s_setprio 0x3141                        ; encoding: [0x41,0x31,0x8f,0xbf]

s_setprio 0xc1d1
// CHECK: s_setprio 0xc1d1                        ; encoding: [0xd1,0xc1,0x8f,0xbf]

s_sleep 0x3141
// CHECK: s_sleep 0x3141                          ; encoding: [0x41,0x31,0x8e,0xbf]

s_sleep 0xc1d1
// CHECK: s_sleep 0xc1d1                          ; encoding: [0xd1,0xc1,0x8e,0xbf]

s_trap 0x3141
// CHECK: s_trap 0x3141                           ; encoding: [0x41,0x31,0x92,0xbf]

s_trap 0xc1d1
// CHECK: s_trap 0xc1d1                           ; encoding: [0xd1,0xc1,0x92,0xbf]

s_ttracedata
// CHECK: s_ttracedata                            ; encoding: [0x00,0x00,0x96,0xbf]

s_waitcnt 0x3141
// CHECK: s_waitcnt vmcnt(1) expcnt(4) lgkmcnt(1) ; encoding: [0x41,0x31,0x8c,0xbf]

s_waitcnt 0xc1d1
// CHECK: s_waitcnt vmcnt(49) expcnt(5) lgkmcnt(1) ; encoding: [0xd1,0xc1,0x8c,0xbf]

s_wakeup
// CHECK: s_wakeup                                ; encoding: [0x00,0x00,0x83,0xbf]
